;; amdgpu-corpus repo=ROCm/rocFFT kind=compiled arch=gfx1030 opt=O3
	.text
	.amdgcn_target "amdgcn-amd-amdhsa--gfx1030"
	.amdhsa_code_object_version 6
	.protected	fft_rtc_back_len100_factors_10_10_wgs_100_tpt_10_half_op_CI_CI_sbcr ; -- Begin function fft_rtc_back_len100_factors_10_10_wgs_100_tpt_10_half_op_CI_CI_sbcr
	.globl	fft_rtc_back_len100_factors_10_10_wgs_100_tpt_10_half_op_CI_CI_sbcr
	.p2align	8
	.type	fft_rtc_back_len100_factors_10_10_wgs_100_tpt_10_half_op_CI_CI_sbcr,@function
fft_rtc_back_len100_factors_10_10_wgs_100_tpt_10_half_op_CI_CI_sbcr: ; @fft_rtc_back_len100_factors_10_10_wgs_100_tpt_10_half_op_CI_CI_sbcr
; %bb.0:
	s_clause 0x1
	s_load_dwordx4 s[20:23], s[4:5], 0x10
	s_load_dwordx2 s[28:29], s[4:5], 0x20
	s_mov_b64 s[26:27], 0
	s_waitcnt lgkmcnt(0)
	s_load_dwordx2 s[24:25], s[20:21], 0x8
	s_waitcnt lgkmcnt(0)
	s_add_u32 s0, s24, -1
	s_addc_u32 s1, s25, -1
	s_add_u32 s2, 0, 0x99986000
	s_addc_u32 s3, 0, 0x59
	s_mul_hi_u32 s8, s2, -10
	s_add_i32 s3, s3, 0x19999940
	s_sub_i32 s8, s8, s2
	s_mul_i32 s10, s3, -10
	s_mul_i32 s7, s2, -10
	s_add_i32 s8, s8, s10
	s_mul_hi_u32 s9, s2, s7
	s_mul_i32 s12, s2, s8
	s_mul_hi_u32 s10, s2, s8
	s_mul_hi_u32 s11, s3, s7
	s_mul_i32 s7, s3, s7
	s_add_u32 s9, s9, s12
	s_addc_u32 s10, 0, s10
	s_mul_hi_u32 s13, s3, s8
	s_add_u32 s7, s9, s7
	s_mul_i32 s8, s3, s8
	s_addc_u32 s7, s10, s11
	s_addc_u32 s9, s13, 0
	s_add_u32 s7, s7, s8
	v_add_co_u32 v1, s2, s2, s7
	s_addc_u32 s7, 0, s9
	s_cmp_lg_u32 s2, 0
	s_addc_u32 s2, s3, s7
	v_readfirstlane_b32 s3, v1
	s_mul_i32 s8, s0, s2
	s_mul_hi_u32 s7, s0, s2
	s_mul_hi_u32 s9, s1, s2
	s_mul_i32 s2, s1, s2
	s_mul_hi_u32 s10, s0, s3
	s_mul_hi_u32 s11, s1, s3
	s_mul_i32 s3, s1, s3
	s_add_u32 s8, s10, s8
	s_addc_u32 s7, 0, s7
	s_add_u32 s3, s8, s3
	s_addc_u32 s3, s7, s11
	s_addc_u32 s7, s9, 0
	s_add_u32 s2, s3, s2
	s_addc_u32 s3, 0, s7
	s_mul_i32 s8, s2, 10
	s_add_u32 s7, s2, 1
	v_sub_co_u32 v1, s0, s0, s8
	s_mul_hi_u32 s8, s2, 10
	s_addc_u32 s9, s3, 0
	s_mul_i32 s10, s3, 10
	v_sub_co_u32 v2, s11, v1, 10
	s_add_u32 s12, s2, 2
	s_addc_u32 s13, s3, 0
	s_add_i32 s8, s8, s10
	s_cmp_lg_u32 s0, 0
	v_readfirstlane_b32 s0, v2
	s_subb_u32 s1, s1, s8
	s_cmp_lg_u32 s11, 0
	s_subb_u32 s8, s1, 0
	s_cmp_gt_u32 s0, 9
	s_cselect_b32 s0, -1, 0
	s_cmp_eq_u32 s8, 0
	v_readfirstlane_b32 s8, v1
	s_cselect_b32 s0, s0, -1
	s_cmp_lg_u32 s0, 0
	s_cselect_b32 s0, s12, s7
	s_cselect_b32 s9, s13, s9
	s_cmp_gt_u32 s8, 9
	s_cselect_b32 s7, -1, 0
	s_cmp_eq_u32 s1, 0
	s_cselect_b32 s1, s7, -1
	s_mov_b32 s7, 0
	s_cmp_lg_u32 s1, 0
	s_cselect_b32 s0, s0, s2
	s_cselect_b32 s1, s9, s3
	s_add_u32 s30, s0, 1
	s_addc_u32 s31, s1, 0
	v_cmp_lt_u64_e64 s0, s[6:7], s[30:31]
	s_and_b32 vcc_lo, exec_lo, s0
	s_cbranch_vccnz .LBB0_2
; %bb.1:
	v_cvt_f32_u32_e32 v1, s30
	s_sub_i32 s1, 0, s30
	s_mov_b32 s27, s7
	v_rcp_iflag_f32_e32 v1, v1
	v_mul_f32_e32 v1, 0x4f7ffffe, v1
	v_cvt_u32_f32_e32 v1, v1
	v_readfirstlane_b32 s0, v1
	s_mul_i32 s1, s1, s0
	s_mul_hi_u32 s1, s0, s1
	s_add_i32 s0, s0, s1
	s_mul_hi_u32 s0, s6, s0
	s_mul_i32 s1, s0, s30
	s_add_i32 s2, s0, 1
	s_sub_i32 s1, s6, s1
	s_sub_i32 s3, s1, s30
	s_cmp_ge_u32 s1, s30
	s_cselect_b32 s0, s2, s0
	s_cselect_b32 s1, s3, s1
	s_add_i32 s2, s0, 1
	s_cmp_ge_u32 s1, s30
	s_cselect_b32 s26, s2, s0
.LBB0_2:
	s_load_dwordx4 s[16:19], s[22:23], 0x0
	s_load_dwordx4 s[8:11], s[28:29], 0x0
	;; [unrolled: 1-line block ×3, first 2 shown]
	s_mul_i32 s0, s26, s31
	s_mul_hi_u32 s1, s26, s30
	s_mul_i32 s2, s26, s30
	s_add_i32 s1, s1, s0
	s_sub_u32 s46, s6, s2
	s_subb_u32 s0, 0, s1
	s_mul_hi_u32 s33, s46, 10
	s_mul_i32 s34, s0, 10
	s_load_dwordx4 s[0:3], s[4:5], 0x58
	s_add_i32 s33, s33, s34
	s_mul_i32 s46, s46, 10
	s_waitcnt lgkmcnt(0)
	s_mul_i32 s4, s18, s33
	s_mul_hi_u32 s5, s18, s46
	v_cmp_lt_u64_e64 s38, s[14:15], 3
	s_mul_i32 s35, s10, s33
	s_mul_hi_u32 s36, s10, s46
	s_mul_i32 s34, s19, s46
	s_mul_i32 s37, s11, s46
	s_add_i32 s4, s5, s4
	s_add_i32 s35, s36, s35
	;; [unrolled: 1-line block ×3, first 2 shown]
	s_mul_i32 s4, s18, s46
	s_add_i32 s47, s35, s37
	s_and_b32 vcc_lo, exec_lo, s38
	s_mul_i32 s48, s10, s46
	s_cbranch_vccnz .LBB0_12
; %bb.3:
	s_add_u32 s34, s28, 16
	s_addc_u32 s35, s29, 0
	s_add_u32 s36, s22, 16
	s_addc_u32 s37, s23, 0
	;; [unrolled: 2-line block ×3, first 2 shown]
	s_mov_b64 s[38:39], 2
	s_mov_b32 s40, 0
.LBB0_4:                                ; =>This Inner Loop Header: Depth=1
	s_load_dwordx2 s[42:43], s[20:21], 0x0
	s_waitcnt lgkmcnt(0)
	s_or_b64 s[44:45], s[26:27], s[42:43]
	s_mov_b32 s41, s45
                                        ; implicit-def: $sgpr44_sgpr45
	s_cmp_lg_u64 s[40:41], 0
	s_mov_b32 s41, -1
	s_cbranch_scc0 .LBB0_6
; %bb.5:                                ;   in Loop: Header=BB0_4 Depth=1
	v_cvt_f32_u32_e32 v1, s42
	v_cvt_f32_u32_e32 v2, s43
	s_sub_u32 s45, 0, s42
	s_subb_u32 s49, 0, s43
	v_fmac_f32_e32 v1, 0x4f800000, v2
	v_rcp_f32_e32 v1, v1
	v_mul_f32_e32 v1, 0x5f7ffffc, v1
	v_mul_f32_e32 v2, 0x2f800000, v1
	v_trunc_f32_e32 v2, v2
	v_fmac_f32_e32 v1, 0xcf800000, v2
	v_cvt_u32_f32_e32 v2, v2
	v_cvt_u32_f32_e32 v1, v1
	v_readfirstlane_b32 s41, v2
	v_readfirstlane_b32 s44, v1
	s_mul_i32 s50, s45, s41
	s_mul_hi_u32 s52, s45, s44
	s_mul_i32 s51, s49, s44
	s_add_i32 s50, s52, s50
	s_mul_i32 s53, s45, s44
	s_add_i32 s50, s50, s51
	s_mul_hi_u32 s52, s44, s53
	s_mul_hi_u32 s54, s41, s53
	s_mul_i32 s51, s41, s53
	s_mul_hi_u32 s53, s44, s50
	s_mul_i32 s44, s44, s50
	s_mul_hi_u32 s55, s41, s50
	s_add_u32 s44, s52, s44
	s_addc_u32 s52, 0, s53
	s_add_u32 s44, s44, s51
	s_mul_i32 s50, s41, s50
	s_addc_u32 s44, s52, s54
	s_addc_u32 s51, s55, 0
	s_add_u32 s44, s44, s50
	s_addc_u32 s50, 0, s51
	v_add_co_u32 v1, s44, v1, s44
	s_cmp_lg_u32 s44, 0
	s_addc_u32 s41, s41, s50
	v_readfirstlane_b32 s44, v1
	s_mul_i32 s50, s45, s41
	s_mul_hi_u32 s51, s45, s44
	s_mul_i32 s49, s49, s44
	s_add_i32 s50, s51, s50
	s_mul_i32 s45, s45, s44
	s_add_i32 s50, s50, s49
	s_mul_hi_u32 s51, s41, s45
	s_mul_i32 s52, s41, s45
	s_mul_hi_u32 s45, s44, s45
	s_mul_hi_u32 s53, s44, s50
	s_mul_i32 s44, s44, s50
	s_mul_hi_u32 s49, s41, s50
	s_add_u32 s44, s45, s44
	s_addc_u32 s45, 0, s53
	s_add_u32 s44, s44, s52
	s_mul_i32 s50, s41, s50
	s_addc_u32 s44, s45, s51
	s_addc_u32 s45, s49, 0
	s_add_u32 s44, s44, s50
	s_addc_u32 s45, 0, s45
	v_add_co_u32 v1, s44, v1, s44
	s_cmp_lg_u32 s44, 0
	s_addc_u32 s41, s41, s45
	v_readfirstlane_b32 s44, v1
	s_mul_i32 s49, s26, s41
	s_mul_hi_u32 s45, s26, s41
	s_mul_hi_u32 s50, s27, s41
	s_mul_i32 s41, s27, s41
	s_mul_hi_u32 s51, s26, s44
	s_mul_hi_u32 s52, s27, s44
	s_mul_i32 s44, s27, s44
	s_add_u32 s49, s51, s49
	s_addc_u32 s45, 0, s45
	s_add_u32 s44, s49, s44
	s_addc_u32 s44, s45, s52
	s_addc_u32 s45, s50, 0
	s_add_u32 s44, s44, s41
	s_addc_u32 s45, 0, s45
	s_mul_hi_u32 s41, s42, s44
	s_mul_i32 s50, s42, s45
	s_mul_i32 s51, s42, s44
	s_add_i32 s41, s41, s50
	v_sub_co_u32 v1, s50, s26, s51
	s_mul_i32 s49, s43, s44
	s_add_i32 s41, s41, s49
	v_sub_co_u32 v2, s51, v1, s42
	s_sub_i32 s49, s27, s41
	s_cmp_lg_u32 s50, 0
	s_subb_u32 s49, s49, s43
	s_cmp_lg_u32 s51, 0
	v_readfirstlane_b32 s51, v2
	s_subb_u32 s49, s49, 0
	s_cmp_ge_u32 s49, s43
	s_cselect_b32 s52, -1, 0
	s_cmp_ge_u32 s51, s42
	s_cselect_b32 s51, -1, 0
	s_cmp_eq_u32 s49, s43
	s_cselect_b32 s49, s51, s52
	s_add_u32 s51, s44, 1
	s_addc_u32 s52, s45, 0
	s_add_u32 s53, s44, 2
	s_addc_u32 s54, s45, 0
	s_cmp_lg_u32 s49, 0
	s_cselect_b32 s49, s53, s51
	s_cselect_b32 s51, s54, s52
	s_cmp_lg_u32 s50, 0
	v_readfirstlane_b32 s50, v1
	s_subb_u32 s41, s27, s41
	s_cmp_ge_u32 s41, s43
	s_cselect_b32 s52, -1, 0
	s_cmp_ge_u32 s50, s42
	s_cselect_b32 s50, -1, 0
	s_cmp_eq_u32 s41, s43
	s_cselect_b32 s41, s50, s52
	s_cmp_lg_u32 s41, 0
	s_mov_b32 s41, 0
	s_cselect_b32 s45, s51, s45
	s_cselect_b32 s44, s49, s44
.LBB0_6:                                ;   in Loop: Header=BB0_4 Depth=1
	s_andn2_b32 vcc_lo, exec_lo, s41
	s_cbranch_vccnz .LBB0_8
; %bb.7:                                ;   in Loop: Header=BB0_4 Depth=1
	v_cvt_f32_u32_e32 v1, s42
	s_sub_i32 s44, 0, s42
	v_rcp_iflag_f32_e32 v1, v1
	v_mul_f32_e32 v1, 0x4f7ffffe, v1
	v_cvt_u32_f32_e32 v1, v1
	v_readfirstlane_b32 s41, v1
	s_mul_i32 s44, s44, s41
	s_mul_hi_u32 s44, s41, s44
	s_add_i32 s41, s41, s44
	s_mul_hi_u32 s41, s26, s41
	s_mul_i32 s44, s41, s42
	s_add_i32 s45, s41, 1
	s_sub_i32 s44, s26, s44
	s_sub_i32 s49, s44, s42
	s_cmp_ge_u32 s44, s42
	s_cselect_b32 s41, s45, s41
	s_cselect_b32 s44, s49, s44
	s_add_i32 s45, s41, 1
	s_cmp_ge_u32 s44, s42
	s_cselect_b32 s44, s45, s41
	s_mov_b32 s45, s40
.LBB0_8:                                ;   in Loop: Header=BB0_4 Depth=1
	s_load_dwordx2 s[50:51], s[36:37], 0x0
	s_load_dwordx2 s[52:53], s[34:35], 0x0
	s_mul_i32 s31, s42, s31
	s_mul_hi_u32 s41, s42, s30
	s_mul_i32 s49, s43, s30
	s_mul_i32 s43, s44, s43
	s_mul_hi_u32 s54, s44, s42
	s_mul_i32 s55, s45, s42
	s_add_i32 s31, s41, s31
	s_add_i32 s41, s54, s43
	s_mul_i32 s56, s44, s42
	s_add_i32 s31, s31, s49
	s_add_i32 s41, s41, s55
	s_sub_u32 s26, s26, s56
	s_subb_u32 s27, s27, s41
	s_mul_i32 s30, s42, s30
	s_waitcnt lgkmcnt(0)
	s_mul_i32 s41, s50, s27
	s_mul_hi_u32 s43, s50, s26
	s_mul_i32 s49, s51, s26
	s_add_i32 s41, s43, s41
	s_mul_i32 s50, s50, s26
	s_mul_i32 s27, s52, s27
	s_mul_hi_u32 s43, s52, s26
	s_add_i32 s41, s41, s49
	s_add_u32 s4, s50, s4
	s_addc_u32 s5, s41, s5
	s_add_i32 s27, s43, s27
	s_mul_i32 s41, s53, s26
	s_mul_i32 s26, s52, s26
	s_add_i32 s27, s27, s41
	s_add_u32 s48, s26, s48
	s_addc_u32 s47, s27, s47
	s_add_u32 s38, s38, 1
	s_addc_u32 s39, s39, 0
	s_add_u32 s34, s34, 8
	v_cmp_ge_u64_e64 s26, s[38:39], s[14:15]
	s_addc_u32 s35, s35, 0
	s_add_u32 s36, s36, 8
	s_addc_u32 s37, s37, 0
	s_add_u32 s20, s20, 8
	s_addc_u32 s21, s21, 0
	s_and_b32 vcc_lo, exec_lo, s26
	s_cbranch_vccnz .LBB0_10
; %bb.9:                                ;   in Loop: Header=BB0_4 Depth=1
	s_mov_b64 s[26:27], s[44:45]
	s_branch .LBB0_4
.LBB0_10:
	v_cmp_lt_u64_e64 s7, s[6:7], s[30:31]
	s_mov_b64 s[26:27], 0
	s_and_b32 vcc_lo, exec_lo, s7
	s_cbranch_vccnz .LBB0_12
; %bb.11:
	v_cvt_f32_u32_e32 v1, s30
	s_sub_i32 s20, 0, s30
	v_rcp_iflag_f32_e32 v1, v1
	v_mul_f32_e32 v1, 0x4f7ffffe, v1
	v_cvt_u32_f32_e32 v1, v1
	v_readfirstlane_b32 s7, v1
	s_mul_i32 s20, s20, s7
	s_mul_hi_u32 s20, s7, s20
	s_add_i32 s7, s7, s20
	s_mul_hi_u32 s7, s6, s7
	s_mul_i32 s20, s7, s30
	s_sub_i32 s6, s6, s20
	s_add_i32 s20, s7, 1
	s_sub_i32 s21, s6, s30
	s_cmp_ge_u32 s6, s30
	s_cselect_b32 s7, s20, s7
	s_cselect_b32 s6, s21, s6
	s_add_i32 s20, s7, 1
	s_cmp_ge_u32 s6, s30
	s_cselect_b32 s26, s20, s7
.LBB0_12:
	v_mul_u32_u24_e32 v1, 0x199a, v0
	s_lshl_b64 s[14:15], s[14:15], 3
	s_add_u32 s6, s28, s14
	s_addc_u32 s7, s29, s15
	v_lshrrev_b32_e32 v1, 16, v1
	s_load_dwordx2 s[6:7], s[6:7], 0x0
	v_mul_lo_u16 v2, v1, 10
	v_sub_nc_u16 v2, v0, v2
	v_and_b32_e32 v2, 0xffff, v2
	v_add_co_u32 v3, s20, s46, v2
	v_add_co_ci_u32_e64 v4, null, s33, 0, s20
	s_add_u32 s20, s46, 10
	s_addc_u32 s21, s33, 0
	v_cmp_le_u64_e64 s27, s[20:21], s[24:25]
	v_cmp_gt_u64_e32 vcc_lo, s[24:25], v[3:4]
	v_cmp_gt_u64_e64 s20, s[20:21], s[24:25]
	s_or_b32 s27, s27, vcc_lo
	s_and_saveexec_b32 s21, s27
	s_cbranch_execz .LBB0_14
; %bb.13:
	s_add_u32 s14, s22, s14
	s_addc_u32 s15, s23, s15
	v_mad_u64_u32 v[3:4], null, s18, v2, 0
	s_load_dwordx2 s[14:15], s[14:15], 0x0
	v_mad_u64_u32 v[5:6], null, s16, v1, 0
	v_add_nc_u32_e32 v14, 10, v1
	v_add_nc_u32_e32 v15, 20, v1
	;; [unrolled: 1-line block ×5, first 2 shown]
	v_mad_u64_u32 v[7:8], null, s16, v14, 0
	v_mad_u64_u32 v[11:12], null, s19, v2, v[4:5]
	;; [unrolled: 1-line block ×3, first 2 shown]
	v_add_nc_u32_e32 v21, 60, v1
	v_add_nc_u32_e32 v23, 0x46, v1
	v_mad_u64_u32 v[12:13], null, s17, v1, v[6:7]
	v_mov_b32_e32 v4, v11
	v_or_b32_e32 v26, 0x50, v1
	s_waitcnt lgkmcnt(0)
	s_mul_i32 s15, s15, s26
	s_mul_hi_u32 s18, s14, s26
	s_mul_i32 s14, s14, s26
	s_add_i32 s15, s18, s15
	v_lshlrev_b64 v[3:4], 2, v[3:4]
	s_lshl_b64 s[14:15], s[14:15], 2
	v_mov_b32_e32 v6, v12
	s_add_u32 s14, s0, s14
	s_addc_u32 s15, s1, s15
	s_lshl_b64 s[0:1], s[4:5], 2
	v_mad_u64_u32 v[11:12], null, s17, v14, v[8:9]
	s_add_u32 s0, s14, s0
	s_addc_u32 s1, s15, s1
	v_add_co_u32 v27, vcc_lo, s0, v3
	v_add_co_ci_u32_e32 v28, vcc_lo, s1, v4, vcc_lo
	v_lshlrev_b64 v[3:4], 2, v[5:6]
	v_mov_b32_e32 v5, v10
	v_mov_b32_e32 v8, v11
	v_mad_u64_u32 v[11:12], null, s16, v16, 0
	v_mad_u64_u32 v[13:14], null, s16, v17, 0
	;; [unrolled: 1-line block ×3, first 2 shown]
	v_lshlrev_b64 v[6:7], 2, v[7:8]
	v_add_co_u32 v3, vcc_lo, v27, v3
	v_mov_b32_e32 v8, v12
	v_add_co_ci_u32_e32 v4, vcc_lo, v28, v4, vcc_lo
	v_mov_b32_e32 v10, v5
	v_add_co_u32 v5, vcc_lo, v27, v6
	v_mad_u64_u32 v[15:16], null, s17, v16, v[8:9]
	v_lshlrev_b64 v[8:9], 2, v[9:10]
	v_add_co_ci_u32_e32 v6, vcc_lo, v28, v7, vcc_lo
	v_mov_b32_e32 v7, v14
	v_add_nc_u32_e32 v29, 0x5a, v1
	v_mov_b32_e32 v12, v15
	v_mad_u64_u32 v[14:15], null, s17, v17, v[7:8]
	v_mad_u64_u32 v[15:16], null, s16, v19, 0
	v_add_co_u32 v7, vcc_lo, v27, v8
	v_add_co_ci_u32_e32 v8, vcc_lo, v28, v9, vcc_lo
	v_lshlrev_b64 v[9:10], 2, v[11:12]
	v_mad_u64_u32 v[17:18], null, s16, v21, 0
	v_mov_b32_e32 v11, v16
	v_lshlrev_b64 v[13:14], 2, v[13:14]
	v_add_co_u32 v9, vcc_lo, v27, v9
	v_mad_u64_u32 v[11:12], null, s17, v19, v[11:12]
	v_mad_u64_u32 v[19:20], null, s16, v23, 0
	v_mov_b32_e32 v12, v18
	v_add_co_ci_u32_e32 v10, vcc_lo, v28, v10, vcc_lo
	v_mov_b32_e32 v16, v11
	v_mad_u64_u32 v[11:12], null, s17, v21, v[12:13]
	v_mov_b32_e32 v12, v20
	v_mad_u64_u32 v[21:22], null, s16, v26, 0
	v_lshlrev_b64 v[15:16], 2, v[15:16]
	v_mad_u64_u32 v[23:24], null, s17, v23, v[12:13]
	v_mad_u64_u32 v[24:25], null, s16, v29, 0
	v_add_co_u32 v12, vcc_lo, v27, v13
	v_add_co_ci_u32_e32 v13, vcc_lo, v28, v14, vcc_lo
	v_mov_b32_e32 v14, v22
	v_mov_b32_e32 v18, v11
	v_mov_b32_e32 v11, v25
	v_mov_b32_e32 v20, v23
	v_mad_u64_u32 v[22:23], null, s17, v26, v[14:15]
	v_add_co_u32 v14, vcc_lo, v27, v15
	v_add_co_ci_u32_e32 v15, vcc_lo, v28, v16, vcc_lo
	v_lshlrev_b64 v[16:17], 2, v[17:18]
	v_mad_u64_u32 v[25:26], null, s17, v29, v[11:12]
	v_lshlrev_b64 v[18:19], 2, v[19:20]
	v_lshlrev_b64 v[20:21], 2, v[21:22]
	v_add_co_u32 v16, vcc_lo, v27, v16
	v_add_co_ci_u32_e32 v17, vcc_lo, v28, v17, vcc_lo
	v_add_co_u32 v18, vcc_lo, v27, v18
	v_lshlrev_b64 v[22:23], 2, v[24:25]
	v_add_co_ci_u32_e32 v19, vcc_lo, v28, v19, vcc_lo
	v_add_co_u32 v20, vcc_lo, v27, v20
	v_add_co_ci_u32_e32 v21, vcc_lo, v28, v21, vcc_lo
	v_add_co_u32 v22, vcc_lo, v27, v22
	v_add_co_ci_u32_e32 v23, vcc_lo, v28, v23, vcc_lo
	s_clause 0x9
	global_load_dword v3, v[3:4], off
	global_load_dword v4, v[5:6], off
	;; [unrolled: 1-line block ×10, first 2 shown]
	v_mul_u32_u24_e32 v13, 0x190, v2
	v_lshlrev_b32_e32 v14, 2, v1
	v_add3_u32 v13, 0, v13, v14
	s_waitcnt vmcnt(8)
	ds_write2_b32 v13, v3, v4 offset1:10
	s_waitcnt vmcnt(6)
	ds_write2_b32 v13, v5, v6 offset0:20 offset1:30
	s_waitcnt vmcnt(4)
	ds_write2_b32 v13, v7, v8 offset0:40 offset1:50
	;; [unrolled: 2-line block ×4, first 2 shown]
.LBB0_14:
	s_or_b32 exec_lo, exec_lo, s21
	s_waitcnt lgkmcnt(0)
	s_mul_i32 s0, s7, s26
	s_mul_hi_u32 s1, s6, s26
	s_mul_i32 s4, s6, s26
	s_add_i32 s1, s1, s0
	s_add_u32 s4, s4, s48
	s_addc_u32 s5, s1, s47
	s_add_u32 s0, 0, 0x99986000
	s_addc_u32 s1, 0, 0x59
	s_mul_hi_u32 s7, s0, -10
	s_add_i32 s1, s1, 0x19999940
	s_sub_i32 s7, s7, s0
	s_mul_i32 s14, s1, -10
	s_mul_i32 s6, s0, -10
	s_add_i32 s7, s7, s14
	s_mul_hi_u32 s15, s1, s6
	s_mul_i32 s14, s1, s6
	s_mul_i32 s16, s0, s7
	s_mul_hi_u32 s6, s0, s6
	s_mul_hi_u32 s17, s0, s7
	s_add_u32 s6, s6, s16
	s_addc_u32 s16, 0, s17
	s_mul_hi_u32 s17, s1, s7
	s_add_u32 s6, s6, s14
	s_addc_u32 s6, s16, s15
	s_mul_i32 s7, s1, s7
	s_addc_u32 s14, s17, 0
	s_add_u32 s6, s6, s7
	v_add_co_u32 v5, s0, s0, s6
	s_addc_u32 s6, 0, s14
	s_cmp_lg_u32 s0, 0
	v_add_co_u32 v7, s0, s46, v1
	v_add_co_ci_u32_e64 v8, null, s33, 0, s0
	s_addc_u32 s0, s1, s6
	v_mul_hi_u32 v1, v7, v5
	v_mad_u64_u32 v[3:4], null, v7, s0, 0
	v_mad_u64_u32 v[5:6], null, v8, v5, 0
	s_barrier
	buffer_gl0_inv
	v_add_co_u32 v1, vcc_lo, v1, v3
	v_add_co_ci_u32_e32 v9, vcc_lo, 0, v4, vcc_lo
	v_mad_u64_u32 v[3:4], null, v8, s0, 0
	v_add_co_u32 v1, vcc_lo, v1, v5
	v_add_co_ci_u32_e32 v1, vcc_lo, v9, v6, vcc_lo
	s_mov_b32 s0, -1
	v_add_co_ci_u32_e32 v4, vcc_lo, 0, v4, vcc_lo
	v_add_co_u32 v1, vcc_lo, v1, v3
	v_add_co_ci_u32_e32 v5, vcc_lo, 0, v4, vcc_lo
	v_mad_u64_u32 v[3:4], null, v1, 10, 0
	v_mov_b32_e32 v1, v4
	v_mad_u64_u32 v[4:5], null, v5, 10, v[1:2]
	v_sub_co_u32 v1, vcc_lo, v7, v3
	v_sub_co_ci_u32_e32 v3, vcc_lo, v8, v4, vcc_lo
	v_sub_co_u32 v4, vcc_lo, v1, 10
	v_subrev_co_ci_u32_e32 v5, vcc_lo, 0, v3, vcc_lo
	v_cmp_lt_u32_e32 vcc_lo, 9, v4
	v_cndmask_b32_e64 v6, 0, -1, vcc_lo
	v_cmp_lt_u32_e32 vcc_lo, 9, v1
	v_cndmask_b32_e64 v7, 0, -1, vcc_lo
	v_cmp_eq_u32_e32 vcc_lo, 0, v5
	v_cndmask_b32_e32 v5, -1, v6, vcc_lo
	v_cmp_eq_u32_e32 vcc_lo, 0, v3
	v_add_nc_u32_e32 v6, -10, v4
	v_cndmask_b32_e32 v3, -1, v7, vcc_lo
	v_cmp_ne_u32_e32 vcc_lo, 0, v5
	v_cndmask_b32_e32 v4, v4, v6, vcc_lo
	v_cmp_ne_u32_e32 vcc_lo, 0, v3
	v_lshlrev_b32_e32 v3, 2, v2
	v_cndmask_b32_e32 v1, v1, v4, vcc_lo
	s_andn2_b32 vcc_lo, exec_lo, s20
	v_mul_u32_u24_e32 v1, 0x64, v1
	v_lshlrev_b32_e32 v12, 2, v1
	v_add3_u32 v1, 0, v3, v12
	v_add3_u32 v3, 0, v12, v3
	ds_read2_b32 v[4:5], v1 offset0:10 offset1:20
	ds_read2_b32 v[6:7], v1 offset0:30 offset1:40
	;; [unrolled: 1-line block ×4, first 2 shown]
	ds_read_b32 v12, v3
	ds_read_b32 v14, v1 offset:360
	v_mad_u32_u24 v13, v2, 36, v1
	v_mul_u32_u24_e32 v2, 9, v2
	s_waitcnt lgkmcnt(0)
	s_barrier
	buffer_gl0_inv
	v_lshlrev_b32_e32 v2, 2, v2
	v_sub_f16_e32 v19, v5, v7
	v_add_f16_e32 v15, v7, v9
	v_sub_f16_sdwa v16, v5, v11 dst_sel:DWORD dst_unused:UNUSED_PAD src0_sel:WORD_1 src1_sel:WORD_1
	v_pk_add_f16 v23, v12, v5
	v_sub_f16_sdwa v17, v7, v9 dst_sel:DWORD dst_unused:UNUSED_PAD src0_sel:WORD_1 src1_sel:WORD_1
	v_sub_f16_e32 v18, v11, v9
	v_add_f16_e32 v20, v5, v11
	v_sub_f16_e32 v21, v9, v11
	v_sub_f16_e32 v22, v7, v5
	v_add_f16_sdwa v24, v7, v9 dst_sel:DWORD dst_unused:UNUSED_PAD src0_sel:WORD_1 src1_sel:WORD_1
	v_lshrrev_b32_e32 v25, 16, v12
	v_sub_f16_e32 v26, v5, v11
	v_sub_f16_e32 v27, v7, v9
	v_sub_f16_sdwa v28, v5, v7 dst_sel:DWORD dst_unused:UNUSED_PAD src0_sel:WORD_1 src1_sel:WORD_1
	v_add_f16_sdwa v30, v5, v11 dst_sel:DWORD dst_unused:UNUSED_PAD src0_sel:WORD_1 src1_sel:WORD_1
	v_sub_f16_sdwa v5, v7, v5 dst_sel:DWORD dst_unused:UNUSED_PAD src0_sel:WORD_1 src1_sel:WORD_1
	v_add_f16_e32 v32, v8, v10
	v_pk_add_f16 v7, v23, v7
	v_sub_f16_sdwa v29, v11, v9 dst_sel:DWORD dst_unused:UNUSED_PAD src0_sel:WORD_1 src1_sel:WORD_1
	v_sub_f16_sdwa v33, v6, v14 dst_sel:DWORD dst_unused:UNUSED_PAD src0_sel:WORD_1 src1_sel:WORD_1
	v_fma_f16 v15, -0.5, v15, v12
	v_add_f16_e32 v18, v19, v18
	v_fma_f16 v12, -0.5, v20, v12
	v_add_f16_e32 v19, v22, v21
	v_fma_f16 v20, -0.5, v24, v25
	v_fmac_f16_e32 v25, -0.5, v30
	v_fma_f16 v22, -0.5, v32, v4
	v_pk_add_f16 v7, v7, v9
	v_sub_f16_sdwa v31, v9, v11 dst_sel:DWORD dst_unused:UNUSED_PAD src0_sel:WORD_1 src1_sel:WORD_1
	v_sub_f16_sdwa v34, v8, v10 dst_sel:DWORD dst_unused:UNUSED_PAD src0_sel:WORD_1 src1_sel:WORD_1
	v_sub_f16_e32 v35, v14, v10
	v_sub_f16_e32 v36, v6, v8
	v_add_f16_e32 v21, v28, v29
	v_fmamk_f16 v23, v16, 0xbb9c, v15
	v_fmac_f16_e32 v15, 0x3b9c, v16
	v_fmamk_f16 v24, v17, 0x3b9c, v12
	v_fmac_f16_e32 v12, 0xbb9c, v17
	;; [unrolled: 2-line block ×4, first 2 shown]
	v_pk_add_f16 v7, v7, v11
	v_add_f16_e32 v11, v6, v14
	v_add_f16_e32 v5, v5, v31
	v_fmamk_f16 v9, v26, 0x3b9c, v20
	v_fmac_f16_e32 v20, 0xbb9c, v26
	v_fmac_f16_e32 v23, 0xb8b4, v17
	;; [unrolled: 1-line block ×8, first 2 shown]
	v_add_f16_e32 v16, v36, v35
	v_fmac_f16_e32 v22, 0x38b4, v34
	v_fma_f16 v11, -0.5, v11, v4
	v_fmac_f16_e32 v9, 0x38b4, v27
	v_fmac_f16_e32 v20, 0xb8b4, v27
	;; [unrolled: 1-line block ×10, first 2 shown]
	v_fmamk_f16 v5, v34, 0x3b9c, v11
	v_sub_f16_e32 v16, v10, v14
	v_sub_f16_e32 v17, v8, v6
	v_fmac_f16_e32 v11, 0xbb9c, v34
	v_add_f16_sdwa v18, v8, v10 dst_sel:DWORD dst_unused:UNUSED_PAD src0_sel:WORD_1 src1_sel:WORD_1
	v_lshrrev_b32_e32 v19, 16, v4
	v_fmac_f16_e32 v9, 0x34f2, v21
	v_fmac_f16_e32 v20, 0x34f2, v21
	;; [unrolled: 1-line block ×3, first 2 shown]
	v_add_f16_e32 v16, v17, v16
	v_fmac_f16_e32 v11, 0x38b4, v33
	v_add_f16_sdwa v17, v6, v14 dst_sel:DWORD dst_unused:UNUSED_PAD src0_sel:WORD_1 src1_sel:WORD_1
	v_fma_f16 v18, -0.5, v18, v19
	v_sub_f16_e32 v21, v6, v14
	v_fmac_f16_e32 v5, 0x34f2, v16
	v_sub_f16_e32 v26, v8, v10
	v_fmac_f16_e32 v19, -0.5, v17
	v_fmac_f16_e32 v11, 0x34f2, v16
	v_fmamk_f16 v16, v21, 0x3b9c, v18
	v_sub_f16_sdwa v17, v6, v8 dst_sel:DWORD dst_unused:UNUSED_PAD src0_sel:WORD_1 src1_sel:WORD_1
	v_sub_f16_sdwa v27, v14, v10 dst_sel:DWORD dst_unused:UNUSED_PAD src0_sel:WORD_1 src1_sel:WORD_1
	v_fmamk_f16 v30, v26, 0xbb9c, v19
	v_sub_f16_sdwa v31, v8, v6 dst_sel:DWORD dst_unused:UNUSED_PAD src0_sel:WORD_1 src1_sel:WORD_1
	v_sub_f16_sdwa v32, v10, v14 dst_sel:DWORD dst_unused:UNUSED_PAD src0_sel:WORD_1 src1_sel:WORD_1
	v_fmac_f16_e32 v19, 0x3b9c, v26
	v_fmac_f16_e32 v16, 0x38b4, v26
	v_add_f16_e32 v17, v17, v27
	v_fmac_f16_e32 v18, 0xbb9c, v21
	v_fmac_f16_e32 v30, 0x38b4, v21
	v_add_f16_e32 v27, v31, v32
	v_fmac_f16_e32 v19, 0xb8b4, v21
	v_pk_add_f16 v4, v4, v6
	v_fmac_f16_e32 v16, 0x34f2, v17
	v_fmac_f16_e32 v18, 0xb8b4, v26
	;; [unrolled: 1-line block ×4, first 2 shown]
	v_pk_add_f16 v4, v4, v8
	v_mul_f16_e32 v6, 0xb8b4, v16
	v_fmac_f16_e32 v18, 0x34f2, v17
	v_mul_f16_e32 v27, 0x38b4, v29
	v_mul_f16_e32 v8, 0xbb9c, v30
	;; [unrolled: 1-line block ×3, first 2 shown]
	v_pk_add_f16 v4, v4, v10
	v_fmac_f16_e32 v6, 0x3a79, v29
	v_mul_f16_e32 v10, 0xb8b4, v18
	v_mul_f16_e32 v29, 0x34f2, v30
	;; [unrolled: 1-line block ×4, first 2 shown]
	v_fmac_f16_e32 v27, 0x3a79, v16
	v_fmac_f16_e32 v8, 0x34f2, v5
	;; [unrolled: 1-line block ×3, first 2 shown]
	v_pk_add_f16 v4, v4, v14
	v_add_f16_e32 v14, v23, v6
	v_fmac_f16_e32 v10, 0xba79, v22
	v_fmac_f16_e32 v29, 0x3b9c, v5
	;; [unrolled: 1-line block ×4, first 2 shown]
	v_add_f16_e32 v11, v9, v27
	v_add_f16_e32 v17, v24, v8
	;; [unrolled: 1-line block ×4, first 2 shown]
	v_pk_add_f16 v5, v7, v4
	v_add_f16_e32 v16, v28, v29
	v_add_f16_e32 v22, v25, v19
	v_sub_f16_e32 v6, v23, v6
	v_sub_f16_e32 v12, v12, v21
	;; [unrolled: 1-line block ×5, first 2 shown]
	v_pack_b32_f16 v11, v14, v11
	v_sub_f16_e32 v14, v20, v18
	v_add_f16_e32 v31, v20, v18
	v_sub_f16_e32 v8, v24, v8
	v_sub_f16_e32 v15, v28, v29
	ds_write2_b32 v13, v5, v11 offset1:1
	v_pack_b32_f16 v5, v26, v22
	v_pack_b32_f16 v11, v17, v16
	;; [unrolled: 1-line block ×5, first 2 shown]
	v_pk_add_f16 v4, v7, v4 neg_lo:[0,1] neg_hi:[0,1]
	v_pack_b32_f16 v7, v30, v31
	v_pack_b32_f16 v8, v8, v15
	ds_write2_b32 v13, v11, v5 offset0:2 offset1:3
	ds_write2_b32 v13, v7, v4 offset0:4 offset1:5
	;; [unrolled: 1-line block ×4, first 2 shown]
	s_waitcnt lgkmcnt(0)
	s_barrier
	buffer_gl0_inv
	s_clause 0x2
	global_load_dwordx4 v[4:7], v2, s[12:13]
	global_load_dwordx4 v[8:11], v2, s[12:13] offset:16
	global_load_dword v20, v2, s[12:13] offset:32
	ds_read_b32 v21, v3
	ds_read2_b32 v[12:13], v1 offset0:50 offset1:60
	ds_read2_b32 v[14:15], v1 offset0:70 offset1:80
	ds_read_b32 v22, v1 offset:360
	ds_read2_b32 v[16:17], v1 offset0:10 offset1:20
	ds_read2_b32 v[18:19], v1 offset0:30 offset1:40
	v_mov_b32_e32 v2, 0x290
	s_waitcnt vmcnt(0) lgkmcnt(0)
	s_barrier
	buffer_gl0_inv
	v_mul_u32_u24_sdwa v2, v0, v2 dst_sel:DWORD dst_unused:UNUSED_PAD src0_sel:WORD_0 src1_sel:DWORD
	v_lshrrev_b32_e32 v2, 16, v2
	v_mul_lo_u16 v3, 0x64, v2
	v_lshrrev_b32_e32 v23, 16, v13
	v_lshrrev_b32_e32 v24, 16, v14
	;; [unrolled: 1-line block ×9, first 2 shown]
	v_sub_nc_u16 v0, v0, v3
	v_and_b32_e32 v3, 0xffff, v0
	v_lshrrev_b32_e32 v0, 16, v21
	v_mul_f16_sdwa v32, v4, v27 dst_sel:DWORD dst_unused:UNUSED_PAD src0_sel:WORD_1 src1_sel:DWORD
	v_mul_f16_sdwa v33, v4, v16 dst_sel:DWORD dst_unused:UNUSED_PAD src0_sel:WORD_1 src1_sel:DWORD
	;; [unrolled: 1-line block ×10, first 2 shown]
	v_mul_f16_sdwa v42, v23, v9 dst_sel:DWORD dst_unused:UNUSED_PAD src0_sel:DWORD src1_sel:WORD_1
	v_mul_f16_sdwa v43, v13, v9 dst_sel:DWORD dst_unused:UNUSED_PAD src0_sel:DWORD src1_sel:WORD_1
	v_mul_f16_sdwa v44, v24, v10 dst_sel:DWORD dst_unused:UNUSED_PAD src0_sel:DWORD src1_sel:WORD_1
	v_mul_f16_sdwa v45, v14, v10 dst_sel:DWORD dst_unused:UNUSED_PAD src0_sel:DWORD src1_sel:WORD_1
	v_mul_f16_sdwa v46, v25, v11 dst_sel:DWORD dst_unused:UNUSED_PAD src0_sel:DWORD src1_sel:WORD_1
	v_mul_f16_sdwa v47, v15, v11 dst_sel:DWORD dst_unused:UNUSED_PAD src0_sel:DWORD src1_sel:WORD_1
	v_mul_f16_sdwa v49, v22, v20 dst_sel:DWORD dst_unused:UNUSED_PAD src0_sel:DWORD src1_sel:WORD_1
	v_mul_f16_sdwa v48, v26, v20 dst_sel:DWORD dst_unused:UNUSED_PAD src0_sel:DWORD src1_sel:WORD_1
	v_fmac_f16_e32 v32, v4, v16
	v_fma_f16 v4, v4, v27, -v33
	v_fmac_f16_e32 v34, v5, v17
	v_fma_f16 v5, v5, v28, -v35
	v_fmac_f16_e32 v36, v6, v18
	v_fma_f16 v6, v6, v29, -v37
	v_fmac_f16_e32 v38, v7, v19
	v_fma_f16 v7, v7, v30, -v39
	v_fmac_f16_e32 v40, v8, v12
	v_fma_f16 v8, v8, v31, -v41
	v_fmac_f16_e32 v42, v13, v9
	v_fma_f16 v9, v23, v9, -v43
	v_fmac_f16_e32 v44, v14, v10
	v_fma_f16 v10, v24, v10, -v45
	v_fmac_f16_e32 v46, v15, v11
	v_fma_f16 v11, v25, v11, -v47
	v_fma_f16 v12, v26, v20, -v49
	v_fmac_f16_e32 v48, v22, v20
	v_sub_f16_e32 v17, v34, v38
	v_sub_f16_e32 v18, v46, v42
	;; [unrolled: 1-line block ×6, first 2 shown]
	v_add_f16_e32 v47, v4, v6
	v_add_f16_e32 v49, v8, v10
	;; [unrolled: 1-line block ×6, first 2 shown]
	v_sub_f16_e32 v25, v34, v46
	v_add_f16_e32 v31, v32, v36
	v_add_f16_e32 v33, v40, v44
	v_sub_f16_e32 v34, v6, v12
	v_sub_f16_e32 v35, v8, v10
	;; [unrolled: 1-line block ×3, first 2 shown]
	v_add_f16_e32 v41, v36, v48
	v_sub_f16_e32 v43, v40, v36
	v_sub_f16_e32 v36, v36, v48
	;; [unrolled: 1-line block ×4, first 2 shown]
	v_add_f16_e32 v17, v17, v18
	v_add_f16_e32 v18, v20, v22
	;; [unrolled: 1-line block ×4, first 2 shown]
	v_fma_f16 v28, -0.5, v49, v4
	v_add_f16_e32 v14, v38, v42
	v_add_f16_e32 v24, v7, v9
	;; [unrolled: 1-line block ×3, first 2 shown]
	v_sub_f16_e32 v39, v48, v44
	v_sub_f16_e32 v50, v40, v44
	v_fmac_f16_e32 v4, -0.5, v53
	v_sub_f16_e32 v15, v5, v11
	v_sub_f16_e32 v16, v7, v9
	;; [unrolled: 1-line block ×5, first 2 shown]
	v_add_f16_e32 v7, v23, v7
	v_fma_f16 v23, -0.5, v33, v32
	v_add_f16_e32 v8, v8, v10
	v_fmamk_f16 v10, v36, 0x3b9c, v28
	v_sub_f16_e32 v26, v38, v42
	v_add_f16_e32 v13, v13, v38
	v_fma_f16 v14, -0.5, v14, v21
	v_fmac_f16_e32 v21, -0.5, v19
	v_fma_f16 v19, -0.5, v24, v0
	v_fmac_f16_e32 v0, -0.5, v29
	v_add_f16_e32 v22, v31, v40
	v_add_f16_e32 v24, v37, v39
	v_fmac_f16_e32 v32, -0.5, v41
	v_fmamk_f16 v39, v50, 0xbb9c, v4
	v_fmac_f16_e32 v4, 0x3b9c, v50
	v_sub_f16_e32 v30, v9, v11
	v_fmac_f16_e32 v28, 0xbb9c, v36
	v_add_f16_e32 v29, v51, v52
	v_add_f16_e32 v7, v7, v9
	v_fmamk_f16 v37, v34, 0xbb9c, v23
	v_fmac_f16_e32 v10, 0x38b4, v50
	v_sub_f16_e32 v45, v44, v48
	v_add_f16_e32 v6, v6, v54
	v_add_f16_e32 v13, v13, v42
	v_fmamk_f16 v33, v26, 0xbb9c, v0
	v_fmac_f16_e32 v0, 0x3b9c, v26
	v_add_f16_e32 v22, v22, v44
	v_fmamk_f16 v38, v35, 0x3b9c, v32
	v_fmac_f16_e32 v32, 0xbb9c, v35
	v_fmac_f16_e32 v39, 0x38b4, v36
	;; [unrolled: 1-line block ×3, first 2 shown]
	v_add_f16_e32 v5, v5, v30
	v_fmamk_f16 v30, v15, 0xbb9c, v14
	v_fmac_f16_e32 v14, 0x3b9c, v15
	v_fmac_f16_e32 v23, 0x3b9c, v34
	;; [unrolled: 1-line block ×3, first 2 shown]
	v_fmamk_f16 v9, v25, 0x3b9c, v19
	v_add_f16_e32 v7, v7, v11
	v_fmac_f16_e32 v37, 0xb8b4, v35
	v_add_f16_e32 v8, v8, v12
	v_fmac_f16_e32 v10, 0x34f2, v29
	v_add_f16_e32 v27, v43, v45
	v_fmamk_f16 v31, v16, 0x3b9c, v21
	v_fmac_f16_e32 v21, 0xbb9c, v16
	v_add_f16_e32 v13, v13, v46
	v_fmac_f16_e32 v33, 0x38b4, v25
	v_fmac_f16_e32 v0, 0xb8b4, v25
	v_add_f16_e32 v11, v22, v48
	v_fmac_f16_e32 v38, 0xb8b4, v34
	v_fmac_f16_e32 v32, 0x38b4, v34
	;; [unrolled: 1-line block ×11, first 2 shown]
	v_add_f16_e32 v6, v7, v8
	v_sub_f16_e32 v7, v7, v8
	v_mul_f16_e32 v8, 0xb8b4, v10
	v_mul_f16_e32 v10, 0x3a79, v10
	v_fmac_f16_e32 v31, 0xb8b4, v15
	v_fmac_f16_e32 v21, 0x38b4, v15
	;; [unrolled: 1-line block ×6, first 2 shown]
	v_add_f16_e32 v5, v13, v11
	v_sub_f16_e32 v11, v13, v11
	v_mul_f16_e32 v12, 0xbb9c, v39
	v_mul_f16_e32 v13, 0xbb9c, v4
	;; [unrolled: 1-line block ×4, first 2 shown]
	v_fmac_f16_e32 v19, 0xb8b4, v26
	v_fmac_f16_e32 v30, 0x34f2, v17
	v_fmac_f16_e32 v14, 0x34f2, v17
	v_fmac_f16_e32 v23, 0x34f2, v24
	v_mul_f16_e32 v15, 0xb8b4, v28
	v_mul_f16_e32 v17, 0xba79, v28
	v_fmac_f16_e32 v9, 0x34f2, v20
	v_fmac_f16_e32 v8, 0x3a79, v37
	;; [unrolled: 1-line block ×12, first 2 shown]
	v_pack_b32_f16 v5, v5, v6
	v_pack_b32_f16 v6, v11, v7
	v_add_f16_e32 v7, v30, v8
	v_add_f16_e32 v22, v9, v10
	;; [unrolled: 1-line block ×8, first 2 shown]
	v_sub_f16_e32 v8, v30, v8
	v_sub_f16_e32 v12, v31, v12
	;; [unrolled: 1-line block ×8, first 2 shown]
	v_pack_b32_f16 v7, v7, v22
	v_pack_b32_f16 v11, v11, v23
	;; [unrolled: 1-line block ×8, first 2 shown]
	ds_write2_b32 v1, v5, v7 offset1:10
	ds_write2_b32 v1, v11, v15 offset0:20 offset1:30
	ds_write2_b32 v1, v16, v6 offset0:40 offset1:50
	;; [unrolled: 1-line block ×4, first 2 shown]
	s_waitcnt lgkmcnt(0)
	s_barrier
	buffer_gl0_inv
	s_cbranch_vccz .LBB0_17
; %bb.15:
	s_andn2_b32 vcc_lo, exec_lo, s0
	s_cbranch_vccz .LBB0_21
.LBB0_16:
	s_endpgm
.LBB0_17:
	v_add_co_u32 v0, s0, s46, v2
	v_add_co_ci_u32_e64 v1, null, s33, 0, s0
	s_mov_b32 s1, exec_lo
	v_cmpx_gt_u64_e64 s[24:25], v[0:1]
	s_cbranch_execz .LBB0_20
; %bb.18:
	v_mad_u64_u32 v[4:5], null, s8, v3, 0
	s_lshl_b64 s[6:7], s[4:5], 2
	v_mul_u32_u24_e32 v7, 0x190, v2
	v_lshlrev_b32_e32 v8, 2, v3
	s_add_u32 s0, s2, s6
	s_addc_u32 s6, s3, s7
	s_mov_b32 s7, 0
	v_mad_u64_u32 v[5:6], null, s9, v3, v[5:6]
	v_lshlrev_b64 v[5:6], 2, v[4:5]
	v_add3_u32 v4, v7, v8, 0
	v_add_co_u32 v5, vcc_lo, s0, v5
	v_add_co_ci_u32_e32 v6, vcc_lo, s6, v6, vcc_lo
	s_mov_b32 s6, 0
	.p2align	6
.LBB0_19:                               ; =>This Inner Loop Header: Depth=1
	v_add_nc_u32_e32 v9, s7, v2
	ds_read_b32 v11, v4
	s_add_i32 s7, s7, 1
	v_add_nc_u32_e32 v4, 0x190, v4
	v_mad_u64_u32 v[7:8], null, s10, v9, 0
	v_mad_u64_u32 v[8:9], null, s11, v9, v[8:9]
	v_add_co_u32 v9, vcc_lo, v0, s7
	v_add_co_ci_u32_e32 v10, vcc_lo, 0, v1, vcc_lo
	v_lshlrev_b64 v[7:8], 2, v[7:8]
	v_cmp_le_u64_e32 vcc_lo, s[24:25], v[9:10]
	v_add_co_u32 v7, s0, v5, v7
	v_add_co_ci_u32_e64 v8, s0, v6, v8, s0
	s_or_b32 s6, vcc_lo, s6
	s_waitcnt lgkmcnt(0)
	global_store_dword v[7:8], v11, off
	s_andn2_b32 exec_lo, exec_lo, s6
	s_cbranch_execnz .LBB0_19
.LBB0_20:
	s_or_b32 exec_lo, exec_lo, s1
	s_cbranch_execnz .LBB0_16
.LBB0_21:
	v_mad_u64_u32 v[0:1], null, s8, v3, 0
	v_mul_u32_u24_e32 v9, 0x190, v2
	v_add_nc_u32_e32 v13, 1, v2
	v_mul_lo_u32 v5, s11, v2
	v_mul_lo_u32 v4, s10, v2
	s_lshl_b64 s[0:1], s[4:5], 2
	v_or_b32_e32 v15, 2, v2
	v_mad_u64_u32 v[6:7], null, s9, v3, v[1:2]
	v_lshlrev_b32_e32 v1, 2, v3
	v_mad_u64_u32 v[7:8], null, s10, v13, 0
	s_add_u32 s0, s2, s0
	v_lshlrev_b64 v[4:5], 2, v[4:5]
	v_add3_u32 v16, 0, v9, v1
	v_mov_b32_e32 v1, v6
	s_addc_u32 s1, s3, s1
	v_mad_u64_u32 v[11:12], null, s10, v15, 0
	ds_read2_b32 v[9:10], v16 offset1:100
	v_lshlrev_b64 v[0:1], 2, v[0:1]
	v_mov_b32_e32 v3, v8
	v_add_nc_u32_e32 v17, 3, v2
	v_add_nc_u32_e32 v21, 9, v2
	;; [unrolled: 1-line block ×3, first 2 shown]
	v_mad_u64_u32 v[13:14], null, s11, v13, v[3:4]
	v_add_co_u32 v18, vcc_lo, s0, v0
	v_add_co_ci_u32_e32 v19, vcc_lo, s1, v1, vcc_lo
	v_mov_b32_e32 v0, v12
	v_add_co_u32 v3, vcc_lo, v18, v4
	v_add_co_ci_u32_e32 v4, vcc_lo, v19, v5, vcc_lo
	v_mov_b32_e32 v8, v13
	v_mad_u64_u32 v[0:1], null, s11, v15, v[0:1]
	s_waitcnt lgkmcnt(0)
	global_store_dword v[3:4], v9, off
	v_or_b32_e32 v9, 4, v2
	v_mad_u64_u32 v[5:6], null, s10, v17, 0
	v_lshlrev_b64 v[3:4], 2, v[7:8]
	v_add_nc_u32_e32 v1, 0x200, v16
	v_mad_u64_u32 v[7:8], null, s10, v9, 0
	v_mov_b32_e32 v12, v0
	v_add_nc_u32_e32 v15, 5, v2
	ds_read2_b32 v[0:1], v1 offset0:72 offset1:172
	v_add_co_u32 v3, vcc_lo, v18, v3
	v_lshlrev_b64 v[11:12], 2, v[11:12]
	v_mad_u64_u32 v[13:14], null, s11, v17, v[6:7]
	v_mad_u64_u32 v[8:9], null, s11, v9, v[8:9]
	v_add_co_ci_u32_e32 v4, vcc_lo, v19, v4, vcc_lo
	v_add_nc_u32_e32 v9, 0x400, v16
	v_add_co_u32 v11, vcc_lo, v18, v11
	v_mov_b32_e32 v6, v13
	v_mad_u64_u32 v[13:14], null, s10, v15, 0
	v_add_co_ci_u32_e32 v12, vcc_lo, v19, v12, vcc_lo
	global_store_dword v[3:4], v10, off
	v_lshlrev_b64 v[3:4], 2, v[5:6]
	ds_read2_b32 v[5:6], v9 offset0:144 offset1:244
	s_waitcnt lgkmcnt(1)
	global_store_dword v[11:12], v0, off
	v_mov_b32_e32 v0, v14
	v_or_b32_e32 v12, 6, v2
	v_lshlrev_b64 v[7:8], 2, v[7:8]
	v_add_co_u32 v3, vcc_lo, v18, v3
	v_mad_u64_u32 v[9:10], null, s11, v15, v[0:1]
	v_mad_u64_u32 v[10:11], null, s10, v12, 0
	v_add_co_ci_u32_e32 v4, vcc_lo, v19, v4, vcc_lo
	v_add_co_u32 v7, vcc_lo, v18, v7
	v_add_co_ci_u32_e32 v8, vcc_lo, v19, v8, vcc_lo
	v_mov_b32_e32 v14, v9
	global_store_dword v[3:4], v1, off
	s_waitcnt lgkmcnt(0)
	global_store_dword v[7:8], v5, off
	v_mov_b32_e32 v0, v11
	v_add_nc_u32_e32 v5, 7, v2
	v_or_b32_e32 v17, 8, v2
	v_lshlrev_b64 v[3:4], 2, v[13:14]
	v_mad_u64_u32 v[14:15], null, s10, v21, 0
	v_mad_u64_u32 v[0:1], null, s11, v12, v[0:1]
	;; [unrolled: 1-line block ×4, first 2 shown]
	v_add_co_u32 v3, vcc_lo, v18, v3
	v_mov_b32_e32 v11, v0
	v_add_co_ci_u32_e32 v4, vcc_lo, v19, v4, vcc_lo
	v_mov_b32_e32 v0, v8
	v_mov_b32_e32 v1, v13
	global_store_dword v[3:4], v6, off
	v_lshlrev_b64 v[3:4], 2, v[10:11]
	v_mad_u64_u32 v[8:9], null, s11, v5, v[0:1]
	v_mad_u64_u32 v[0:1], null, s11, v17, v[1:2]
	v_mov_b32_e32 v5, v15
	ds_read2_b32 v[1:2], v20 offset0:88 offset1:188
	v_add_co_u32 v3, vcc_lo, v18, v3
	v_add_co_ci_u32_e32 v4, vcc_lo, v19, v4, vcc_lo
	v_mov_b32_e32 v13, v0
	v_add_nc_u32_e32 v0, 0xc00, v16
	v_mad_u64_u32 v[5:6], null, s11, v21, v[5:6]
	v_lshlrev_b64 v[6:7], 2, v[7:8]
	v_lshlrev_b64 v[10:11], 2, v[12:13]
	ds_read2_b32 v[8:9], v0 offset0:32 offset1:132
	v_mov_b32_e32 v15, v5
	v_add_co_u32 v5, vcc_lo, v18, v6
	v_add_co_ci_u32_e32 v6, vcc_lo, v19, v7, vcc_lo
	v_lshlrev_b64 v[12:13], 2, v[14:15]
	v_add_co_u32 v10, vcc_lo, v18, v10
	v_add_co_ci_u32_e32 v11, vcc_lo, v19, v11, vcc_lo
	v_add_co_u32 v12, vcc_lo, v18, v12
	v_add_co_ci_u32_e32 v13, vcc_lo, v19, v13, vcc_lo
	s_waitcnt lgkmcnt(1)
	global_store_dword v[3:4], v1, off
	global_store_dword v[5:6], v2, off
	s_waitcnt lgkmcnt(0)
	global_store_dword v[10:11], v8, off
	global_store_dword v[12:13], v9, off
	s_endpgm
	.section	.rodata,"a",@progbits
	.p2align	6, 0x0
	.amdhsa_kernel fft_rtc_back_len100_factors_10_10_wgs_100_tpt_10_half_op_CI_CI_sbcr
		.amdhsa_group_segment_fixed_size 0
		.amdhsa_private_segment_fixed_size 0
		.amdhsa_kernarg_size 104
		.amdhsa_user_sgpr_count 6
		.amdhsa_user_sgpr_private_segment_buffer 1
		.amdhsa_user_sgpr_dispatch_ptr 0
		.amdhsa_user_sgpr_queue_ptr 0
		.amdhsa_user_sgpr_kernarg_segment_ptr 1
		.amdhsa_user_sgpr_dispatch_id 0
		.amdhsa_user_sgpr_flat_scratch_init 0
		.amdhsa_user_sgpr_private_segment_size 0
		.amdhsa_wavefront_size32 1
		.amdhsa_uses_dynamic_stack 0
		.amdhsa_system_sgpr_private_segment_wavefront_offset 0
		.amdhsa_system_sgpr_workgroup_id_x 1
		.amdhsa_system_sgpr_workgroup_id_y 0
		.amdhsa_system_sgpr_workgroup_id_z 0
		.amdhsa_system_sgpr_workgroup_info 0
		.amdhsa_system_vgpr_workitem_id 0
		.amdhsa_next_free_vgpr 55
		.amdhsa_next_free_sgpr 57
		.amdhsa_reserve_vcc 1
		.amdhsa_reserve_flat_scratch 0
		.amdhsa_float_round_mode_32 0
		.amdhsa_float_round_mode_16_64 0
		.amdhsa_float_denorm_mode_32 3
		.amdhsa_float_denorm_mode_16_64 3
		.amdhsa_dx10_clamp 1
		.amdhsa_ieee_mode 1
		.amdhsa_fp16_overflow 0
		.amdhsa_workgroup_processor_mode 1
		.amdhsa_memory_ordered 1
		.amdhsa_forward_progress 0
		.amdhsa_shared_vgpr_count 0
		.amdhsa_exception_fp_ieee_invalid_op 0
		.amdhsa_exception_fp_denorm_src 0
		.amdhsa_exception_fp_ieee_div_zero 0
		.amdhsa_exception_fp_ieee_overflow 0
		.amdhsa_exception_fp_ieee_underflow 0
		.amdhsa_exception_fp_ieee_inexact 0
		.amdhsa_exception_int_div_zero 0
	.end_amdhsa_kernel
	.text
.Lfunc_end0:
	.size	fft_rtc_back_len100_factors_10_10_wgs_100_tpt_10_half_op_CI_CI_sbcr, .Lfunc_end0-fft_rtc_back_len100_factors_10_10_wgs_100_tpt_10_half_op_CI_CI_sbcr
                                        ; -- End function
	.section	.AMDGPU.csdata,"",@progbits
; Kernel info:
; codeLenInByte = 6312
; NumSgprs: 59
; NumVgprs: 55
; ScratchSize: 0
; MemoryBound: 0
; FloatMode: 240
; IeeeMode: 1
; LDSByteSize: 0 bytes/workgroup (compile time only)
; SGPRBlocks: 7
; VGPRBlocks: 6
; NumSGPRsForWavesPerEU: 59
; NumVGPRsForWavesPerEU: 55
; Occupancy: 16
; WaveLimiterHint : 1
; COMPUTE_PGM_RSRC2:SCRATCH_EN: 0
; COMPUTE_PGM_RSRC2:USER_SGPR: 6
; COMPUTE_PGM_RSRC2:TRAP_HANDLER: 0
; COMPUTE_PGM_RSRC2:TGID_X_EN: 1
; COMPUTE_PGM_RSRC2:TGID_Y_EN: 0
; COMPUTE_PGM_RSRC2:TGID_Z_EN: 0
; COMPUTE_PGM_RSRC2:TIDIG_COMP_CNT: 0
	.text
	.p2alignl 6, 3214868480
	.fill 48, 4, 3214868480
	.type	__hip_cuid_78af8471be823277,@object ; @__hip_cuid_78af8471be823277
	.section	.bss,"aw",@nobits
	.globl	__hip_cuid_78af8471be823277
__hip_cuid_78af8471be823277:
	.byte	0                               ; 0x0
	.size	__hip_cuid_78af8471be823277, 1

	.ident	"AMD clang version 19.0.0git (https://github.com/RadeonOpenCompute/llvm-project roc-6.4.0 25133 c7fe45cf4b819c5991fe208aaa96edf142730f1d)"
	.section	".note.GNU-stack","",@progbits
	.addrsig
	.addrsig_sym __hip_cuid_78af8471be823277
	.amdgpu_metadata
---
amdhsa.kernels:
  - .args:
      - .actual_access:  read_only
        .address_space:  global
        .offset:         0
        .size:           8
        .value_kind:     global_buffer
      - .offset:         8
        .size:           8
        .value_kind:     by_value
      - .actual_access:  read_only
        .address_space:  global
        .offset:         16
        .size:           8
        .value_kind:     global_buffer
      - .actual_access:  read_only
        .address_space:  global
        .offset:         24
        .size:           8
        .value_kind:     global_buffer
      - .actual_access:  read_only
        .address_space:  global
        .offset:         32
        .size:           8
        .value_kind:     global_buffer
      - .offset:         40
        .size:           8
        .value_kind:     by_value
      - .actual_access:  read_only
        .address_space:  global
        .offset:         48
        .size:           8
        .value_kind:     global_buffer
      - .actual_access:  read_only
        .address_space:  global
        .offset:         56
        .size:           8
        .value_kind:     global_buffer
      - .offset:         64
        .size:           4
        .value_kind:     by_value
      - .actual_access:  read_only
        .address_space:  global
        .offset:         72
        .size:           8
        .value_kind:     global_buffer
      - .actual_access:  read_only
        .address_space:  global
        .offset:         80
        .size:           8
        .value_kind:     global_buffer
      - .actual_access:  read_only
        .address_space:  global
        .offset:         88
        .size:           8
        .value_kind:     global_buffer
      - .actual_access:  write_only
        .address_space:  global
        .offset:         96
        .size:           8
        .value_kind:     global_buffer
    .group_segment_fixed_size: 0
    .kernarg_segment_align: 8
    .kernarg_segment_size: 104
    .language:       OpenCL C
    .language_version:
      - 2
      - 0
    .max_flat_workgroup_size: 100
    .name:           fft_rtc_back_len100_factors_10_10_wgs_100_tpt_10_half_op_CI_CI_sbcr
    .private_segment_fixed_size: 0
    .sgpr_count:     59
    .sgpr_spill_count: 0
    .symbol:         fft_rtc_back_len100_factors_10_10_wgs_100_tpt_10_half_op_CI_CI_sbcr.kd
    .uniform_work_group_size: 1
    .uses_dynamic_stack: false
    .vgpr_count:     55
    .vgpr_spill_count: 0
    .wavefront_size: 32
    .workgroup_processor_mode: 1
amdhsa.target:   amdgcn-amd-amdhsa--gfx1030
amdhsa.version:
  - 1
  - 2
...

	.end_amdgpu_metadata
